;; amdgpu-corpus repo=ROCm/rocFFT kind=compiled arch=gfx950 opt=O3
	.text
	.amdgcn_target "amdgcn-amd-amdhsa--gfx950"
	.amdhsa_code_object_version 6
	.protected	fft_rtc_back_len102_factors_17_6_wgs_119_tpt_17_halfLds_dp_ip_CI_unitstride_sbrr_C2R_dirReg ; -- Begin function fft_rtc_back_len102_factors_17_6_wgs_119_tpt_17_halfLds_dp_ip_CI_unitstride_sbrr_C2R_dirReg
	.globl	fft_rtc_back_len102_factors_17_6_wgs_119_tpt_17_halfLds_dp_ip_CI_unitstride_sbrr_C2R_dirReg
	.p2align	8
	.type	fft_rtc_back_len102_factors_17_6_wgs_119_tpt_17_halfLds_dp_ip_CI_unitstride_sbrr_C2R_dirReg,@function
fft_rtc_back_len102_factors_17_6_wgs_119_tpt_17_halfLds_dp_ip_CI_unitstride_sbrr_C2R_dirReg: ; @fft_rtc_back_len102_factors_17_6_wgs_119_tpt_17_halfLds_dp_ip_CI_unitstride_sbrr_C2R_dirReg
; %bb.0:
	s_load_dwordx2 s[8:9], s[0:1], 0x50
	s_load_dwordx4 s[4:7], s[0:1], 0x0
	s_load_dwordx2 s[10:11], s[0:1], 0x18
	v_mul_u32_u24_e32 v1, 0xf10, v0
	v_lshrrev_b32_e32 v2, 16, v1
	v_mad_u64_u32 v[2:3], s[2:3], s2, 7, v[2:3]
	v_mov_b32_e32 v6, 0
	v_mov_b32_e32 v3, v6
	s_waitcnt lgkmcnt(0)
	v_cmp_lt_u64_e64 s[2:3], s[6:7], 2
	s_and_b64 vcc, exec, s[2:3]
	v_mov_b64_e32 v[4:5], 0
	v_mov_b64_e32 v[10:11], v[2:3]
	s_cbranch_vccnz .LBB0_8
; %bb.1:
	s_load_dwordx2 s[2:3], s[0:1], 0x10
	s_add_u32 s12, s10, 8
	s_addc_u32 s13, s11, 0
	s_mov_b64 s[14:15], 1
	v_mov_b64_e32 v[4:5], 0
	s_waitcnt lgkmcnt(0)
	s_add_u32 s16, s2, 8
	s_addc_u32 s17, s3, 0
	v_mov_b64_e32 v[8:9], v[2:3]
.LBB0_2:                                ; =>This Inner Loop Header: Depth=1
	s_load_dwordx2 s[18:19], s[16:17], 0x0
                                        ; implicit-def: $vgpr10_vgpr11
	s_waitcnt lgkmcnt(0)
	v_or_b32_e32 v7, s19, v9
	v_cmp_ne_u64_e32 vcc, 0, v[6:7]
	s_and_saveexec_b64 s[2:3], vcc
	s_xor_b64 s[20:21], exec, s[2:3]
	s_cbranch_execz .LBB0_4
; %bb.3:                                ;   in Loop: Header=BB0_2 Depth=1
	v_cvt_f32_u32_e32 v1, s18
	v_cvt_f32_u32_e32 v3, s19
	s_sub_u32 s2, 0, s18
	s_subb_u32 s3, 0, s19
	v_fmac_f32_e32 v1, 0x4f800000, v3
	v_rcp_f32_e32 v1, v1
	s_nop 0
	v_mul_f32_e32 v1, 0x5f7ffffc, v1
	v_mul_f32_e32 v3, 0x2f800000, v1
	v_trunc_f32_e32 v3, v3
	v_fmac_f32_e32 v1, 0xcf800000, v3
	v_cvt_u32_f32_e32 v3, v3
	v_cvt_u32_f32_e32 v1, v1
	v_mul_lo_u32 v7, s2, v3
	v_mul_hi_u32 v10, s2, v1
	v_mul_lo_u32 v11, s3, v1
	v_add_u32_e32 v7, v10, v7
	v_mul_lo_u32 v14, s2, v1
	v_add_u32_e32 v7, v7, v11
	v_mul_hi_u32 v10, v1, v14
	v_mul_hi_u32 v13, v1, v7
	v_mul_lo_u32 v12, v1, v7
	v_mov_b32_e32 v11, v6
	v_lshl_add_u64 v[10:11], v[10:11], 0, v[12:13]
	v_mul_hi_u32 v13, v3, v14
	v_mul_lo_u32 v14, v3, v14
	v_add_co_u32_e32 v10, vcc, v10, v14
	v_mul_hi_u32 v12, v3, v7
	s_nop 0
	v_addc_co_u32_e32 v10, vcc, v11, v13, vcc
	v_mov_b32_e32 v11, v6
	s_nop 0
	v_addc_co_u32_e32 v13, vcc, 0, v12, vcc
	v_mul_lo_u32 v12, v3, v7
	v_lshl_add_u64 v[10:11], v[10:11], 0, v[12:13]
	v_add_co_u32_e32 v1, vcc, v1, v10
	v_mul_hi_u32 v10, s2, v1
	s_nop 0
	v_addc_co_u32_e32 v3, vcc, v3, v11, vcc
	v_mul_lo_u32 v7, s2, v3
	v_add_u32_e32 v7, v10, v7
	v_mul_lo_u32 v10, s3, v1
	v_add_u32_e32 v7, v7, v10
	v_mul_lo_u32 v12, s2, v1
	v_mul_hi_u32 v15, v3, v12
	v_mul_lo_u32 v16, v3, v12
	v_mul_hi_u32 v11, v1, v7
	;; [unrolled: 2-line block ×3, first 2 shown]
	v_mov_b32_e32 v13, v6
	v_lshl_add_u64 v[10:11], v[12:13], 0, v[10:11]
	v_add_co_u32_e32 v10, vcc, v10, v16
	v_mul_hi_u32 v14, v3, v7
	s_nop 0
	v_addc_co_u32_e32 v10, vcc, v11, v15, vcc
	v_mul_lo_u32 v12, v3, v7
	s_nop 0
	v_addc_co_u32_e32 v13, vcc, 0, v14, vcc
	v_mov_b32_e32 v11, v6
	v_lshl_add_u64 v[10:11], v[10:11], 0, v[12:13]
	v_add_co_u32_e32 v1, vcc, v1, v10
	v_mul_hi_u32 v12, v8, v1
	s_nop 0
	v_addc_co_u32_e32 v3, vcc, v3, v11, vcc
	v_mad_u64_u32 v[10:11], s[2:3], v8, v3, 0
	v_mov_b32_e32 v13, v6
	v_lshl_add_u64 v[10:11], v[12:13], 0, v[10:11]
	v_mad_u64_u32 v[14:15], s[2:3], v9, v1, 0
	v_add_co_u32_e32 v1, vcc, v10, v14
	v_mad_u64_u32 v[12:13], s[2:3], v9, v3, 0
	s_nop 0
	v_addc_co_u32_e32 v10, vcc, v11, v15, vcc
	v_mov_b32_e32 v11, v6
	s_nop 0
	v_addc_co_u32_e32 v13, vcc, 0, v13, vcc
	v_lshl_add_u64 v[10:11], v[10:11], 0, v[12:13]
	v_mul_lo_u32 v1, s19, v10
	v_mul_lo_u32 v3, s18, v11
	v_mad_u64_u32 v[12:13], s[2:3], s18, v10, 0
	v_add3_u32 v1, v13, v3, v1
	v_sub_u32_e32 v3, v9, v1
	v_mov_b32_e32 v7, s19
	v_sub_co_u32_e32 v16, vcc, v8, v12
	v_lshl_add_u64 v[14:15], v[10:11], 0, 1
	s_nop 0
	v_subb_co_u32_e64 v3, s[2:3], v3, v7, vcc
	v_subrev_co_u32_e64 v7, s[2:3], s18, v16
	v_subb_co_u32_e32 v1, vcc, v9, v1, vcc
	s_nop 0
	v_subbrev_co_u32_e64 v3, s[2:3], 0, v3, s[2:3]
	v_cmp_le_u32_e64 s[2:3], s19, v3
	v_cmp_le_u32_e32 vcc, s19, v1
	s_nop 0
	v_cndmask_b32_e64 v12, 0, -1, s[2:3]
	v_cmp_le_u32_e64 s[2:3], s18, v7
	s_nop 1
	v_cndmask_b32_e64 v7, 0, -1, s[2:3]
	v_cmp_eq_u32_e64 s[2:3], s19, v3
	s_nop 1
	v_cndmask_b32_e64 v3, v12, v7, s[2:3]
	v_lshl_add_u64 v[12:13], v[10:11], 0, 2
	v_cmp_ne_u32_e64 s[2:3], 0, v3
	v_cndmask_b32_e64 v7, 0, -1, vcc
	v_cmp_le_u32_e32 vcc, s18, v16
	v_cndmask_b32_e64 v3, v15, v13, s[2:3]
	s_nop 0
	v_cndmask_b32_e64 v13, 0, -1, vcc
	v_cmp_eq_u32_e32 vcc, s19, v1
	s_nop 1
	v_cndmask_b32_e32 v1, v7, v13, vcc
	v_cmp_ne_u32_e32 vcc, 0, v1
	v_cndmask_b32_e64 v1, v14, v12, s[2:3]
	s_nop 0
	v_cndmask_b32_e32 v11, v11, v3, vcc
	v_cndmask_b32_e32 v10, v10, v1, vcc
.LBB0_4:                                ;   in Loop: Header=BB0_2 Depth=1
	s_andn2_saveexec_b64 s[2:3], s[20:21]
	s_cbranch_execz .LBB0_6
; %bb.5:                                ;   in Loop: Header=BB0_2 Depth=1
	v_cvt_f32_u32_e32 v1, s18
	s_sub_i32 s20, 0, s18
	v_mov_b32_e32 v11, v6
	v_rcp_iflag_f32_e32 v1, v1
	s_nop 0
	v_mul_f32_e32 v1, 0x4f7ffffe, v1
	v_cvt_u32_f32_e32 v1, v1
	v_mul_lo_u32 v3, s20, v1
	v_mul_hi_u32 v3, v1, v3
	v_add_u32_e32 v1, v1, v3
	v_mul_hi_u32 v1, v8, v1
	v_mul_lo_u32 v3, v1, s18
	v_sub_u32_e32 v3, v8, v3
	v_add_u32_e32 v7, 1, v1
	v_subrev_u32_e32 v10, s18, v3
	v_cmp_le_u32_e32 vcc, s18, v3
	s_nop 1
	v_cndmask_b32_e32 v3, v3, v10, vcc
	v_cndmask_b32_e32 v1, v1, v7, vcc
	v_add_u32_e32 v7, 1, v1
	v_cmp_le_u32_e32 vcc, s18, v3
	s_nop 1
	v_cndmask_b32_e32 v10, v1, v7, vcc
.LBB0_6:                                ;   in Loop: Header=BB0_2 Depth=1
	s_or_b64 exec, exec, s[2:3]
	v_mad_u64_u32 v[12:13], s[2:3], v10, s18, 0
	s_load_dwordx2 s[2:3], s[12:13], 0x0
	s_add_u32 s14, s14, 1
	v_mul_lo_u32 v1, v11, s18
	v_mul_lo_u32 v3, v10, s19
	s_addc_u32 s15, s15, 0
	v_add3_u32 v1, v13, v3, v1
	v_sub_co_u32_e32 v3, vcc, v8, v12
	s_add_u32 s12, s12, 8
	s_nop 0
	v_subb_co_u32_e32 v1, vcc, v9, v1, vcc
	s_addc_u32 s13, s13, 0
	v_mov_b64_e32 v[8:9], s[6:7]
	s_waitcnt lgkmcnt(0)
	v_mul_lo_u32 v1, s2, v1
	v_mul_lo_u32 v7, s3, v3
	v_mad_u64_u32 v[4:5], s[2:3], s2, v3, v[4:5]
	s_add_u32 s16, s16, 8
	v_cmp_ge_u64_e32 vcc, s[14:15], v[8:9]
	v_add3_u32 v5, v7, v5, v1
	s_addc_u32 s17, s17, 0
	s_cbranch_vccnz .LBB0_8
; %bb.7:                                ;   in Loop: Header=BB0_2 Depth=1
	v_mov_b64_e32 v[8:9], v[10:11]
	s_branch .LBB0_2
.LBB0_8:
	s_lshl_b64 s[2:3], s[6:7], 3
	s_add_u32 s2, s10, s2
	s_addc_u32 s3, s11, s3
	s_load_dwordx2 s[6:7], s[2:3], 0x0
	s_load_dwordx2 s[10:11], s[0:1], 0x20
	s_waitcnt lgkmcnt(0)
	v_mad_u64_u32 v[4:5], s[0:1], s6, v10, v[4:5]
	v_mul_lo_u32 v1, s6, v11
	v_mul_lo_u32 v3, s7, v10
	s_mov_b32 s0, 0x24924925
	v_add3_u32 v5, v3, v5, v1
	v_mul_hi_u32 v1, v2, s0
	v_sub_u32_e32 v3, v2, v1
	v_lshrrev_b32_e32 v3, 1, v3
	v_add_u32_e32 v1, v3, v1
	v_lshrrev_b32_e32 v1, 2, v1
	v_mul_lo_u32 v1, v1, 7
	s_mov_b32 s0, 0xf0f0f10
	v_sub_u32_e32 v1, v2, v1
	v_mul_hi_u32 v2, v0, s0
	v_mul_u32_u24_e32 v1, 0x67, v1
	v_mul_u32_u24_e32 v2, 17, v2
	v_cmp_gt_u64_e32 vcc, s[10:11], v[10:11]
	v_sub_u32_e32 v70, v0, v2
	v_lshl_add_u64 v[68:69], v[4:5], 4, s[8:9]
	v_lshlrev_b32_e32 v122, 4, v1
	s_and_saveexec_b64 s[2:3], vcc
	s_cbranch_execz .LBB0_12
; %bb.9:
	v_mov_b32_e32 v71, 0
	v_lshl_add_u64 v[26:27], v[70:71], 4, v[68:69]
	global_load_dwordx4 v[2:5], v[26:27], off
	global_load_dwordx4 v[6:9], v[26:27], off offset:272
	global_load_dwordx4 v[10:13], v[26:27], off offset:544
	;; [unrolled: 1-line block ×5, first 2 shown]
	v_lshlrev_b32_e32 v0, 4, v70
	v_add3_u32 v0, 0, v122, v0
	v_cmp_eq_u32_e64 s[0:1], 16, v70
	s_waitcnt vmcnt(5)
	ds_write_b128 v0, v[2:5]
	s_waitcnt vmcnt(4)
	ds_write_b128 v0, v[6:9] offset:272
	s_waitcnt vmcnt(3)
	ds_write_b128 v0, v[10:13] offset:544
	;; [unrolled: 2-line block ×5, first 2 shown]
	s_and_saveexec_b64 s[6:7], s[0:1]
	s_cbranch_execz .LBB0_11
; %bb.10:
	global_load_dwordx4 v[2:5], v[68:69], off offset:1632
	v_mov_b32_e32 v70, 16
	s_waitcnt vmcnt(0)
	ds_write_b128 v0, v[2:5] offset:1376
.LBB0_11:
	s_or_b64 exec, exec, s[6:7]
.LBB0_12:
	s_or_b64 exec, exec, s[2:3]
	v_lshl_add_u32 v120, v1, 4, 0
	v_lshlrev_b32_e32 v11, 4, v70
	v_add_u32_e32 v121, v120, v11
	s_waitcnt lgkmcnt(0)
	s_barrier
	v_sub_u32_e32 v10, v120, v11
	ds_read_b64 v[6:7], v121
	ds_read_b64 v[8:9], v10 offset:1632
	v_cmp_ne_u32_e64 s[0:1], 0, v70
                                        ; implicit-def: $vgpr4_vgpr5
	s_waitcnt lgkmcnt(0)
	v_add_f64 v[0:1], v[6:7], v[8:9]
	v_add_f64 v[2:3], v[6:7], -v[8:9]
	s_and_saveexec_b64 s[2:3], s[0:1]
	s_xor_b64 s[0:1], exec, s[2:3]
	s_cbranch_execz .LBB0_14
; %bb.13:
	v_mov_b32_e32 v71, 0
	v_lshl_add_u64 v[0:1], v[70:71], 4, s[4:5]
	global_load_dwordx4 v[12:15], v[0:1], off offset:1360
	ds_read_b64 v[0:1], v10 offset:1640
	ds_read_b64 v[2:3], v121 offset:8
	v_add_f64 v[4:5], v[6:7], v[8:9]
	v_add_f64 v[8:9], v[6:7], -v[8:9]
	s_waitcnt lgkmcnt(0)
	v_add_f64 v[16:17], v[0:1], v[2:3]
	v_add_f64 v[0:1], v[2:3], -v[0:1]
	s_waitcnt vmcnt(0)
	v_fma_f64 v[18:19], v[8:9], v[14:15], v[4:5]
	v_fma_f64 v[4:5], -v[8:9], v[14:15], v[4:5]
	v_fma_f64 v[6:7], v[16:17], v[14:15], -v[0:1]
	v_fma_f64 v[2:3], v[16:17], v[14:15], v[0:1]
	v_fmac_f64_e32 v[4:5], v[16:17], v[12:13]
	v_fmac_f64_e32 v[6:7], v[8:9], v[12:13]
	v_fma_f64 v[0:1], -v[16:17], v[12:13], v[18:19]
	v_fmac_f64_e32 v[2:3], v[8:9], v[12:13]
	ds_write_b128 v10, v[4:7] offset:1632
	v_mov_b64_e32 v[4:5], v[70:71]
.LBB0_14:
	s_andn2_saveexec_b64 s[0:1], s[0:1]
	s_cbranch_execz .LBB0_16
; %bb.15:
	ds_read_b128 v[4:7], v120 offset:816
	s_waitcnt lgkmcnt(0)
	v_add_f64 v[4:5], v[4:5], v[4:5]
	v_mul_f64 v[6:7], v[6:7], -2.0
	ds_write_b128 v120, v[4:7] offset:816
	v_mov_b64_e32 v[4:5], 0
.LBB0_16:
	s_or_b64 exec, exec, s[0:1]
	s_add_u32 s0, s4, 0x550
	s_addc_u32 s1, s5, 0
	v_lshl_add_u64 v[8:9], v[4:5], 4, s[0:1]
	global_load_dwordx4 v[4:7], v[8:9], off offset:272
	global_load_dwordx4 v[12:15], v[8:9], off offset:544
	ds_write_b128 v121, v[0:3]
	ds_read_b128 v[0:3], v121 offset:272
	ds_read_b128 v[16:19], v10 offset:1360
	v_add3_u32 v71, 0, v11, v122
	v_cmp_gt_u32_e64 s[0:1], 6, v70
	s_waitcnt lgkmcnt(0)
	v_add_f64 v[8:9], v[0:1], v[16:17]
	v_add_f64 v[20:21], v[18:19], v[2:3]
	v_add_f64 v[22:23], v[0:1], -v[16:17]
	v_add_f64 v[0:1], v[2:3], -v[18:19]
	s_waitcnt vmcnt(1)
	v_fma_f64 v[24:25], v[22:23], v[6:7], v[8:9]
	v_fma_f64 v[2:3], v[20:21], v[6:7], v[0:1]
	v_fma_f64 v[16:17], -v[22:23], v[6:7], v[8:9]
	v_fma_f64 v[18:19], v[20:21], v[6:7], -v[0:1]
	v_fma_f64 v[0:1], -v[20:21], v[4:5], v[24:25]
	v_fmac_f64_e32 v[2:3], v[22:23], v[4:5]
	v_fmac_f64_e32 v[16:17], v[20:21], v[4:5]
	;; [unrolled: 1-line block ×3, first 2 shown]
	ds_write_b128 v121, v[0:3] offset:272
	ds_write_b128 v10, v[16:19] offset:1360
	ds_read_b128 v[0:3], v121 offset:544
	ds_read_b128 v[4:7], v10 offset:1088
	s_waitcnt lgkmcnt(0)
	v_add_f64 v[8:9], v[0:1], v[4:5]
	v_add_f64 v[16:17], v[6:7], v[2:3]
	v_add_f64 v[18:19], v[0:1], -v[4:5]
	v_add_f64 v[0:1], v[2:3], -v[6:7]
	s_waitcnt vmcnt(0)
	v_fma_f64 v[20:21], v[18:19], v[14:15], v[8:9]
	v_fma_f64 v[2:3], v[16:17], v[14:15], v[0:1]
	v_fma_f64 v[4:5], -v[18:19], v[14:15], v[8:9]
	v_fma_f64 v[6:7], v[16:17], v[14:15], -v[0:1]
	v_fma_f64 v[0:1], -v[16:17], v[12:13], v[20:21]
	v_fmac_f64_e32 v[2:3], v[18:19], v[12:13]
	v_fmac_f64_e32 v[4:5], v[16:17], v[12:13]
	;; [unrolled: 1-line block ×3, first 2 shown]
	ds_write_b128 v121, v[0:3] offset:544
	ds_write_b128 v10, v[4:7] offset:1088
	s_waitcnt lgkmcnt(0)
	s_barrier
	s_barrier
	ds_read_b128 v[0:3], v121
	ds_read_b128 v[4:7], v71 offset:96
	ds_read_b128 v[8:11], v71 offset:192
	;; [unrolled: 1-line block ×16, first 2 shown]
	s_waitcnt lgkmcnt(0)
	s_barrier
	s_and_saveexec_b64 s[2:3], s[0:1]
	s_cbranch_execz .LBB0_18
; %bb.17:
	v_add_f64 v[72:73], v[2:3], v[6:7]
	v_add_f64 v[72:73], v[72:73], v[10:11]
	;; [unrolled: 1-line block ×17, first 2 shown]
	v_add_f64 v[66:67], v[66:67], -v[62:63]
	v_add_f64 v[62:63], v[76:77], v[62:63]
	v_add_f64 v[76:77], v[78:79], v[60:61]
	v_add_f64 v[92:93], v[52:53], -v[56:57]
	v_add_f64 v[52:53], v[52:53], v[56:57]
	v_add_f64 v[56:57], v[76:77], v[56:57]
	;; [unrolled: 3-line block ×4, first 2 shown]
	v_add_f64 v[90:91], v[46:47], -v[50:51]
	v_add_f64 v[46:47], v[56:57], v[48:49]
	v_add_f64 v[100:101], v[44:45], -v[48:49]
	v_add_f64 v[54:55], v[44:45], v[48:49]
	v_add_f64 v[44:45], v[58:59], v[50:51]
	v_add_f64 v[78:79], v[34:35], v[42:43]
	v_add_f64 v[94:95], v[34:35], -v[42:43]
	v_add_f64 v[34:35], v[46:47], v[40:41]
	v_add_f64 v[104:105], v[32:33], -v[40:41]
	v_add_f64 v[56:57], v[32:33], v[40:41]
	v_add_f64 v[32:33], v[44:45], v[42:43]
	v_add_f64 v[82:83], v[26:27], v[38:39]
	;; [unrolled: 6-line block ×3, first 2 shown]
	v_add_f64 v[106:107], v[18:19], -v[30:31]
	v_add_f64 v[18:19], v[26:27], v[28:29]
	s_mov_b32 s16, 0xacd6c6b4
	v_add_f64 v[114:115], v[16:17], -v[28:29]
	v_add_f64 v[76:77], v[16:17], v[28:29]
	v_add_f64 v[16:17], v[24:25], v[30:31]
	;; [unrolled: 1-line block ×3, first 2 shown]
	v_add_f64 v[110:111], v[10:11], -v[22:23]
	v_add_f64 v[10:11], v[18:19], v[20:21]
	v_add_f64 v[118:119], v[4:5], -v[12:13]
	s_mov_b32 s28, 0x5d8e7cdc
	s_mov_b32 s17, 0xbfc7851a
	;; [unrolled: 1-line block ×3, first 2 shown]
	v_add_f64 v[116:117], v[8:9], -v[20:21]
	v_add_f64 v[80:81], v[8:9], v[20:21]
	v_add_f64 v[8:9], v[16:17], v[22:23]
	;; [unrolled: 1-line block ×5, first 2 shown]
	s_mov_b32 s29, 0x3fd71e95
	s_mov_b32 s10, 0x370991
	;; [unrolled: 1-line block ×3, first 2 shown]
	v_mul_f64 v[12:13], v[118:119], s[16:17]
	s_mov_b32 s20, 0x4363dd80
	v_add_f64 v[112:113], v[6:7], -v[14:15]
	v_add_f64 v[6:7], v[8:9], v[14:15]
	s_mov_b32 s11, 0x3fedd6d0
	v_fma_f64 v[8:9], s[0:1], v[96:97], v[12:13]
	v_mul_f64 v[14:15], v[116:117], s[28:29]
	s_mov_b32 s21, 0xbfe0d888
	s_mov_b32 s8, 0x910ea3b9
	s_mov_b32 s38, 0x2a9d6da3
	v_add_f64 v[8:9], v[2:3], v[8:9]
	v_fma_f64 v[10:11], s[10:11], v[88:89], v[14:15]
	s_mov_b32 s9, 0xbfeb34fa
	v_mul_f64 v[16:17], v[114:115], s[20:21]
	s_mov_b32 s39, 0x3fe58eea
	s_mov_b32 s6, 0x75d4884
	s_mov_b32 s22, 0x6c9a05f6
	v_add_f64 v[8:9], v[10:11], v[8:9]
	v_fma_f64 v[10:11], s[8:9], v[86:87], v[16:17]
	s_mov_b32 s7, 0x3fe7a5f6
	;; [unrolled: 7-line block ×4, first 2 shown]
	v_mul_f64 v[22:23], v[100:101], s[30:31]
	s_mov_b32 s27, 0xbfeec746
	s_mov_b32 s18, 0xc61f0d01
	v_add_f64 v[8:9], v[10:11], v[8:9]
	v_fma_f64 v[10:11], s[14:15], v[62:63], v[22:23]
	s_mov_b32 s19, 0xbfd183b1
	v_mul_f64 v[24:25], v[92:93], s[26:27]
	v_add_f64 v[8:9], v[10:11], v[8:9]
	v_fma_f64 v[10:11], s[18:19], v[60:61], v[24:25]
	v_mul_f64 v[26:27], v[112:113], s[16:17]
	v_add_f64 v[8:9], v[10:11], v[8:9]
	v_fma_f64 v[10:11], v[98:99], s[0:1], -v[26:27]
	v_mul_f64 v[28:29], v[110:111], s[28:29]
	v_fma_f64 v[12:13], v[96:97], s[0:1], -v[12:13]
	v_add_f64 v[10:11], v[0:1], v[10:11]
	v_fma_f64 v[30:31], v[80:81], s[10:11], -v[28:29]
	v_fma_f64 v[14:15], v[88:89], s[10:11], -v[14:15]
	v_add_f64 v[12:13], v[2:3], v[12:13]
	v_add_f64 v[10:11], v[30:31], v[10:11]
	v_mul_f64 v[30:31], v[106:107], s[20:21]
	v_add_f64 v[12:13], v[14:15], v[12:13]
	v_fma_f64 v[14:15], v[86:87], s[8:9], -v[16:17]
	v_fma_f64 v[32:33], v[76:77], s[8:9], -v[30:31]
	v_add_f64 v[12:13], v[14:15], v[12:13]
	v_fma_f64 v[14:15], v[82:83], s[6:7], -v[18:19]
	v_add_f64 v[10:11], v[32:33], v[10:11]
	v_mul_f64 v[32:33], v[102:103], s[38:39]
	v_add_f64 v[12:13], v[14:15], v[12:13]
	v_fma_f64 v[14:15], v[78:79], s[12:13], -v[20:21]
	v_fma_f64 v[34:35], v[58:59], s[6:7], -v[32:33]
	v_add_f64 v[12:13], v[14:15], v[12:13]
	v_fma_f64 v[14:15], v[62:63], s[14:15], -v[22:23]
	v_add_f64 v[10:11], v[34:35], v[10:11]
	v_mul_f64 v[34:35], v[94:95], s[22:23]
	v_add_f64 v[12:13], v[14:15], v[12:13]
	v_fma_f64 v[14:15], v[60:61], s[18:19], -v[24:25]
	v_fmac_f64_e32 v[26:27], s[0:1], v[98:99]
	v_fma_f64 v[36:37], v[56:57], s[12:13], -v[34:35]
	v_add_f64 v[12:13], v[14:15], v[12:13]
	v_fmac_f64_e32 v[28:29], s[10:11], v[80:81]
	v_add_f64 v[14:15], v[0:1], v[26:27]
	v_add_f64 v[10:11], v[36:37], v[10:11]
	v_mul_f64 v[36:37], v[90:91], s[30:31]
	v_add_f64 v[14:15], v[28:29], v[14:15]
	v_fmac_f64_e32 v[30:31], s[8:9], v[76:77]
	v_fma_f64 v[38:39], v[54:55], s[14:15], -v[36:37]
	s_mov_b32 s50, 0xeb564b22
	v_add_f64 v[14:15], v[30:31], v[14:15]
	v_fmac_f64_e32 v[32:33], s[6:7], v[58:59]
	v_add_f64 v[10:11], v[38:39], v[10:11]
	v_mul_f64 v[38:39], v[84:85], s[26:27]
	s_mov_b32 s51, 0x3fefdd0d
	s_mov_b32 s24, 0x3259b75e
	v_add_f64 v[14:15], v[32:33], v[14:15]
	v_fmac_f64_e32 v[34:35], s[12:13], v[56:57]
	v_fma_f64 v[40:41], v[52:53], s[18:19], -v[38:39]
	s_mov_b32 s25, 0x3fb79ee6
	v_mul_f64 v[42:43], v[74:75], s[50:51]
	v_add_f64 v[14:15], v[34:35], v[14:15]
	v_fmac_f64_e32 v[36:37], s[14:15], v[54:55]
	v_add_f64 v[40:41], v[40:41], v[10:11]
	v_fma_f64 v[10:11], s[24:25], v[72:73], v[42:43]
	v_mul_f64 v[44:45], v[66:67], s[50:51]
	v_add_f64 v[14:15], v[36:37], v[14:15]
	v_fmac_f64_e32 v[38:39], s[18:19], v[52:53]
	v_add_f64 v[10:11], v[10:11], v[8:9]
	v_fma_f64 v[8:9], v[64:65], s[24:25], -v[44:45]
	v_add_f64 v[16:17], v[38:39], v[14:15]
	v_fma_f64 v[14:15], v[72:73], s[24:25], -v[42:43]
	v_fmac_f64_e32 v[44:45], s[24:25], v[64:65]
	v_mul_f64 v[20:21], v[118:119], s[20:21]
	v_add_f64 v[14:15], v[14:15], v[12:13]
	v_add_f64 v[12:13], v[44:45], v[16:17]
	v_fma_f64 v[16:17], s[8:9], v[96:97], v[20:21]
	v_mul_f64 v[22:23], v[116:117], s[30:31]
	s_mov_b32 s35, 0xbfefdd0d
	s_mov_b32 s34, s50
	v_add_f64 v[16:17], v[2:3], v[16:17]
	v_fma_f64 v[18:19], s[14:15], v[88:89], v[22:23]
	v_mul_f64 v[24:25], v[114:115], s[34:35]
	s_mov_b32 s47, 0x3fe9895b
	s_mov_b32 s46, s22
	;; [unrolled: 5-line block ×3, first 2 shown]
	v_add_f64 v[16:17], v[18:19], v[16:17]
	v_fma_f64 v[18:19], s[12:13], v[82:83], v[26:27]
	v_mul_f64 v[28:29], v[104:105], s[36:37]
	v_add_f64 v[16:17], v[18:19], v[16:17]
	v_fma_f64 v[18:19], s[10:11], v[78:79], v[28:29]
	v_mul_f64 v[30:31], v[100:101], s[16:17]
	;; [unrolled: 3-line block ×4, first 2 shown]
	v_add_f64 v[16:17], v[18:19], v[16:17]
	v_fma_f64 v[18:19], v[98:99], s[8:9], -v[34:35]
	v_mul_f64 v[36:37], v[110:111], s[30:31]
	v_fma_f64 v[20:21], v[96:97], s[8:9], -v[20:21]
	v_add_f64 v[18:19], v[0:1], v[18:19]
	v_fma_f64 v[38:39], v[80:81], s[14:15], -v[36:37]
	v_fma_f64 v[22:23], v[88:89], s[14:15], -v[22:23]
	v_add_f64 v[20:21], v[2:3], v[20:21]
	v_add_f64 v[18:19], v[38:39], v[18:19]
	v_mul_f64 v[38:39], v[106:107], s[34:35]
	v_add_f64 v[20:21], v[22:23], v[20:21]
	v_fma_f64 v[22:23], v[86:87], s[24:25], -v[24:25]
	v_add_f64 v[8:9], v[8:9], v[40:41]
	v_fma_f64 v[40:41], v[76:77], s[24:25], -v[38:39]
	;; [unrolled: 2-line block ×3, first 2 shown]
	v_add_f64 v[18:19], v[40:41], v[18:19]
	v_mul_f64 v[40:41], v[102:103], s[46:47]
	v_add_f64 v[20:21], v[22:23], v[20:21]
	v_fma_f64 v[22:23], v[78:79], s[10:11], -v[28:29]
	v_fma_f64 v[42:43], v[58:59], s[12:13], -v[40:41]
	v_add_f64 v[20:21], v[22:23], v[20:21]
	v_fma_f64 v[22:23], v[62:63], s[0:1], -v[30:31]
	v_add_f64 v[18:19], v[42:43], v[18:19]
	v_mul_f64 v[42:43], v[94:95], s[36:37]
	v_add_f64 v[20:21], v[22:23], v[20:21]
	v_fma_f64 v[22:23], v[60:61], s[6:7], -v[32:33]
	v_fmac_f64_e32 v[34:35], s[8:9], v[98:99]
	v_fma_f64 v[44:45], v[56:57], s[10:11], -v[42:43]
	v_add_f64 v[20:21], v[22:23], v[20:21]
	v_fmac_f64_e32 v[36:37], s[14:15], v[80:81]
	v_add_f64 v[22:23], v[0:1], v[34:35]
	v_add_f64 v[18:19], v[44:45], v[18:19]
	v_mul_f64 v[44:45], v[90:91], s[16:17]
	v_add_f64 v[22:23], v[36:37], v[22:23]
	v_fmac_f64_e32 v[38:39], s[24:25], v[76:77]
	v_fma_f64 v[46:47], v[54:55], s[0:1], -v[44:45]
	v_add_f64 v[22:23], v[38:39], v[22:23]
	v_fmac_f64_e32 v[40:41], s[12:13], v[58:59]
	v_add_f64 v[18:19], v[46:47], v[18:19]
	v_mul_f64 v[46:47], v[84:85], s[38:39]
	v_add_f64 v[22:23], v[40:41], v[22:23]
	v_fmac_f64_e32 v[42:43], s[10:11], v[56:57]
	v_fma_f64 v[48:49], v[52:53], s[6:7], -v[46:47]
	v_mul_f64 v[50:51], v[74:75], s[26:27]
	v_add_f64 v[22:23], v[42:43], v[22:23]
	v_fmac_f64_e32 v[44:45], s[0:1], v[54:55]
	v_add_f64 v[48:49], v[48:49], v[18:19]
	v_fma_f64 v[18:19], s[18:19], v[72:73], v[50:51]
	v_mul_f64 v[124:125], v[66:67], s[26:27]
	v_add_f64 v[22:23], v[44:45], v[22:23]
	v_fmac_f64_e32 v[46:47], s[6:7], v[52:53]
	v_add_f64 v[18:19], v[18:19], v[16:17]
	v_fma_f64 v[16:17], v[64:65], s[18:19], -v[124:125]
	v_add_f64 v[24:25], v[46:47], v[22:23]
	v_fma_f64 v[22:23], v[72:73], s[18:19], -v[50:51]
	v_fmac_f64_e32 v[124:125], s[18:19], v[64:65]
	s_mov_b32 s43, 0x3feec746
	s_mov_b32 s42, s26
	v_mul_f64 v[28:29], v[118:119], s[22:23]
	v_add_f64 v[22:23], v[22:23], v[20:21]
	v_add_f64 v[20:21], v[124:125], v[24:25]
	v_fma_f64 v[24:25], s[12:13], v[96:97], v[28:29]
	v_mul_f64 v[30:31], v[116:117], s[42:43]
	v_add_f64 v[24:25], v[2:3], v[24:25]
	v_fma_f64 v[26:27], s[18:19], v[88:89], v[30:31]
	v_mul_f64 v[32:33], v[114:115], s[36:37]
	;; [unrolled: 3-line block ×4, first 2 shown]
	s_mov_b32 s41, 0xbfe58eea
	s_mov_b32 s40, s38
	v_add_f64 v[24:25], v[26:27], v[24:25]
	v_fma_f64 v[26:27], s[24:25], v[78:79], v[36:37]
	v_mul_f64 v[38:39], v[100:101], s[40:41]
	v_add_f64 v[24:25], v[26:27], v[24:25]
	v_fma_f64 v[26:27], s[6:7], v[62:63], v[38:39]
	v_mul_f64 v[40:41], v[92:93], s[16:17]
	;; [unrolled: 3-line block ×3, first 2 shown]
	v_add_f64 v[24:25], v[26:27], v[24:25]
	v_fma_f64 v[26:27], v[98:99], s[12:13], -v[42:43]
	v_mul_f64 v[44:45], v[110:111], s[42:43]
	v_fma_f64 v[28:29], v[96:97], s[12:13], -v[28:29]
	v_add_f64 v[26:27], v[0:1], v[26:27]
	v_fma_f64 v[46:47], v[80:81], s[18:19], -v[44:45]
	v_fma_f64 v[30:31], v[88:89], s[18:19], -v[30:31]
	v_add_f64 v[28:29], v[2:3], v[28:29]
	v_add_f64 v[26:27], v[46:47], v[26:27]
	v_mul_f64 v[46:47], v[106:107], s[36:37]
	v_add_f64 v[28:29], v[30:31], v[28:29]
	v_fma_f64 v[30:31], v[86:87], s[10:11], -v[32:33]
	v_add_f64 v[16:17], v[16:17], v[48:49]
	v_fma_f64 v[48:49], v[76:77], s[10:11], -v[46:47]
	;; [unrolled: 2-line block ×3, first 2 shown]
	v_add_f64 v[26:27], v[48:49], v[26:27]
	v_mul_f64 v[48:49], v[102:103], s[20:21]
	v_add_f64 v[28:29], v[30:31], v[28:29]
	v_fma_f64 v[30:31], v[78:79], s[24:25], -v[36:37]
	v_fma_f64 v[50:51], v[58:59], s[8:9], -v[48:49]
	v_add_f64 v[28:29], v[30:31], v[28:29]
	v_fma_f64 v[30:31], v[62:63], s[6:7], -v[38:39]
	v_add_f64 v[26:27], v[50:51], v[26:27]
	v_mul_f64 v[50:51], v[94:95], s[50:51]
	v_add_f64 v[28:29], v[30:31], v[28:29]
	v_fma_f64 v[30:31], v[60:61], s[0:1], -v[40:41]
	v_fmac_f64_e32 v[42:43], s[12:13], v[98:99]
	v_fma_f64 v[124:125], v[56:57], s[24:25], -v[50:51]
	v_add_f64 v[28:29], v[30:31], v[28:29]
	v_fmac_f64_e32 v[44:45], s[18:19], v[80:81]
	v_add_f64 v[30:31], v[0:1], v[42:43]
	v_add_f64 v[26:27], v[124:125], v[26:27]
	v_mul_f64 v[124:125], v[90:91], s[40:41]
	v_add_f64 v[30:31], v[44:45], v[30:31]
	v_fmac_f64_e32 v[46:47], s[10:11], v[76:77]
	v_fma_f64 v[126:127], v[54:55], s[6:7], -v[124:125]
	v_add_f64 v[30:31], v[46:47], v[30:31]
	v_fmac_f64_e32 v[48:49], s[8:9], v[58:59]
	v_add_f64 v[26:27], v[126:127], v[26:27]
	v_mul_f64 v[126:127], v[84:85], s[16:17]
	v_add_f64 v[30:31], v[48:49], v[30:31]
	v_fmac_f64_e32 v[50:51], s[24:25], v[56:57]
	v_fma_f64 v[128:129], v[52:53], s[0:1], -v[126:127]
	v_mul_f64 v[130:131], v[74:75], s[30:31]
	v_add_f64 v[30:31], v[50:51], v[30:31]
	v_fmac_f64_e32 v[124:125], s[6:7], v[54:55]
	v_add_f64 v[128:129], v[128:129], v[26:27]
	v_fma_f64 v[26:27], s[14:15], v[72:73], v[130:131]
	v_mul_f64 v[132:133], v[66:67], s[30:31]
	v_add_f64 v[30:31], v[124:125], v[30:31]
	v_fmac_f64_e32 v[126:127], s[0:1], v[52:53]
	v_add_f64 v[26:27], v[26:27], v[24:25]
	v_fma_f64 v[24:25], v[64:65], s[14:15], -v[132:133]
	v_add_f64 v[32:33], v[126:127], v[30:31]
	v_fma_f64 v[30:31], v[72:73], s[14:15], -v[130:131]
	v_fmac_f64_e32 v[132:133], s[14:15], v[64:65]
	s_mov_b32 s49, 0x3fe0d888
	s_mov_b32 s48, s20
	v_mul_f64 v[36:37], v[118:119], s[26:27]
	v_add_f64 v[30:31], v[30:31], v[28:29]
	v_add_f64 v[28:29], v[132:133], v[32:33]
	v_fma_f64 v[32:33], s[18:19], v[96:97], v[36:37]
	v_mul_f64 v[38:39], v[116:117], s[48:49]
	v_add_f64 v[32:33], v[2:3], v[32:33]
	v_fma_f64 v[34:35], s[8:9], v[88:89], v[38:39]
	v_mul_f64 v[40:41], v[114:115], s[38:39]
	s_mov_b32 s45, 0xbfeca52d
	s_mov_b32 s44, s30
	v_add_f64 v[32:33], v[34:35], v[32:33]
	v_fma_f64 v[34:35], s[6:7], v[86:87], v[40:41]
	v_mul_f64 v[42:43], v[108:109], s[44:45]
	v_add_f64 v[32:33], v[34:35], v[32:33]
	v_fma_f64 v[34:35], s[14:15], v[82:83], v[42:43]
	v_mul_f64 v[44:45], v[104:105], s[16:17]
	;; [unrolled: 3-line block ×5, first 2 shown]
	v_add_f64 v[32:33], v[34:35], v[32:33]
	v_fma_f64 v[34:35], v[98:99], s[18:19], -v[50:51]
	v_mul_f64 v[124:125], v[110:111], s[48:49]
	v_fma_f64 v[36:37], v[96:97], s[18:19], -v[36:37]
	v_add_f64 v[34:35], v[0:1], v[34:35]
	v_fma_f64 v[126:127], v[80:81], s[8:9], -v[124:125]
	v_fma_f64 v[38:39], v[88:89], s[8:9], -v[38:39]
	v_add_f64 v[36:37], v[2:3], v[36:37]
	v_add_f64 v[34:35], v[126:127], v[34:35]
	v_mul_f64 v[126:127], v[106:107], s[38:39]
	v_add_f64 v[36:37], v[38:39], v[36:37]
	v_fma_f64 v[38:39], v[86:87], s[6:7], -v[40:41]
	v_add_f64 v[24:25], v[24:25], v[128:129]
	v_fma_f64 v[128:129], v[76:77], s[6:7], -v[126:127]
	;; [unrolled: 2-line block ×3, first 2 shown]
	v_add_f64 v[34:35], v[128:129], v[34:35]
	v_mul_f64 v[128:129], v[102:103], s[44:45]
	v_add_f64 v[36:37], v[38:39], v[36:37]
	v_fma_f64 v[38:39], v[78:79], s[0:1], -v[44:45]
	v_fma_f64 v[130:131], v[58:59], s[14:15], -v[128:129]
	v_add_f64 v[36:37], v[38:39], v[36:37]
	v_fma_f64 v[38:39], v[62:63], s[24:25], -v[46:47]
	v_add_f64 v[34:35], v[130:131], v[34:35]
	v_mul_f64 v[130:131], v[94:95], s[16:17]
	v_add_f64 v[36:37], v[38:39], v[36:37]
	v_fma_f64 v[38:39], v[60:61], s[10:11], -v[48:49]
	v_fmac_f64_e32 v[50:51], s[18:19], v[98:99]
	v_fma_f64 v[132:133], v[56:57], s[0:1], -v[130:131]
	v_add_f64 v[36:37], v[38:39], v[36:37]
	v_fmac_f64_e32 v[124:125], s[8:9], v[80:81]
	v_add_f64 v[38:39], v[0:1], v[50:51]
	v_add_f64 v[34:35], v[132:133], v[34:35]
	v_mul_f64 v[132:133], v[90:91], s[50:51]
	v_add_f64 v[38:39], v[124:125], v[38:39]
	v_fmac_f64_e32 v[126:127], s[6:7], v[76:77]
	v_fma_f64 v[134:135], v[54:55], s[24:25], -v[132:133]
	v_add_f64 v[38:39], v[126:127], v[38:39]
	v_fmac_f64_e32 v[128:129], s[14:15], v[58:59]
	v_add_f64 v[34:35], v[134:135], v[34:35]
	v_mul_f64 v[134:135], v[84:85], s[36:37]
	v_add_f64 v[38:39], v[128:129], v[38:39]
	v_fmac_f64_e32 v[130:131], s[0:1], v[56:57]
	v_fma_f64 v[136:137], v[52:53], s[10:11], -v[134:135]
	v_mul_f64 v[138:139], v[74:75], s[22:23]
	v_add_f64 v[38:39], v[130:131], v[38:39]
	v_fmac_f64_e32 v[132:133], s[24:25], v[54:55]
	v_add_f64 v[136:137], v[136:137], v[34:35]
	v_fma_f64 v[34:35], s[12:13], v[72:73], v[138:139]
	v_mul_f64 v[140:141], v[66:67], s[22:23]
	v_add_f64 v[38:39], v[132:133], v[38:39]
	v_fmac_f64_e32 v[134:135], s[10:11], v[52:53]
	v_add_f64 v[34:35], v[34:35], v[32:33]
	v_fma_f64 v[32:33], v[64:65], s[12:13], -v[140:141]
	v_add_f64 v[40:41], v[134:135], v[38:39]
	v_fma_f64 v[38:39], v[72:73], s[12:13], -v[138:139]
	v_fmac_f64_e32 v[140:141], s[12:13], v[64:65]
	v_mul_f64 v[44:45], v[118:119], s[34:35]
	v_add_f64 v[38:39], v[38:39], v[36:37]
	v_add_f64 v[36:37], v[140:141], v[40:41]
	v_fma_f64 v[40:41], s[24:25], v[96:97], v[44:45]
	v_mul_f64 v[46:47], v[116:117], s[16:17]
	v_add_f64 v[40:41], v[2:3], v[40:41]
	v_fma_f64 v[42:43], s[0:1], v[88:89], v[46:47]
	v_mul_f64 v[48:49], v[114:115], s[42:43]
	;; [unrolled: 3-line block ×7, first 2 shown]
	v_add_f64 v[40:41], v[42:43], v[40:41]
	v_fma_f64 v[42:43], v[98:99], s[24:25], -v[130:131]
	v_mul_f64 v[132:133], v[110:111], s[16:17]
	v_fma_f64 v[44:45], v[96:97], s[24:25], -v[44:45]
	v_add_f64 v[42:43], v[0:1], v[42:43]
	v_fma_f64 v[134:135], v[80:81], s[0:1], -v[132:133]
	v_fma_f64 v[46:47], v[88:89], s[0:1], -v[46:47]
	v_add_f64 v[44:45], v[2:3], v[44:45]
	v_add_f64 v[42:43], v[134:135], v[42:43]
	v_mul_f64 v[134:135], v[106:107], s[42:43]
	v_add_f64 v[44:45], v[46:47], v[44:45]
	v_fma_f64 v[46:47], v[86:87], s[18:19], -v[48:49]
	v_add_f64 v[32:33], v[32:33], v[136:137]
	v_fma_f64 v[136:137], v[76:77], s[18:19], -v[134:135]
	;; [unrolled: 2-line block ×3, first 2 shown]
	v_add_f64 v[42:43], v[136:137], v[42:43]
	v_mul_f64 v[136:137], v[102:103], s[28:29]
	v_add_f64 v[44:45], v[46:47], v[44:45]
	v_fma_f64 v[46:47], v[78:79], s[14:15], -v[124:125]
	v_fma_f64 v[138:139], v[58:59], s[10:11], -v[136:137]
	v_add_f64 v[44:45], v[46:47], v[44:45]
	v_fma_f64 v[46:47], v[62:63], s[8:9], -v[126:127]
	v_add_f64 v[42:43], v[138:139], v[42:43]
	v_mul_f64 v[138:139], v[94:95], s[44:45]
	v_add_f64 v[44:45], v[46:47], v[44:45]
	v_fma_f64 v[46:47], v[60:61], s[12:13], -v[128:129]
	v_fmac_f64_e32 v[130:131], s[24:25], v[98:99]
	v_fma_f64 v[140:141], v[56:57], s[14:15], -v[138:139]
	v_add_f64 v[44:45], v[46:47], v[44:45]
	v_fmac_f64_e32 v[132:133], s[0:1], v[80:81]
	v_add_f64 v[46:47], v[0:1], v[130:131]
	v_add_f64 v[42:43], v[140:141], v[42:43]
	v_mul_f64 v[140:141], v[90:91], s[20:21]
	v_add_f64 v[46:47], v[132:133], v[46:47]
	v_fmac_f64_e32 v[134:135], s[18:19], v[76:77]
	v_fma_f64 v[142:143], v[54:55], s[8:9], -v[140:141]
	v_add_f64 v[46:47], v[134:135], v[46:47]
	v_fmac_f64_e32 v[136:137], s[10:11], v[58:59]
	v_add_f64 v[42:43], v[142:143], v[42:43]
	v_mul_f64 v[142:143], v[84:85], s[46:47]
	v_add_f64 v[46:47], v[136:137], v[46:47]
	v_fmac_f64_e32 v[138:139], s[14:15], v[56:57]
	v_fma_f64 v[144:145], v[52:53], s[12:13], -v[142:143]
	v_mul_f64 v[146:147], v[74:75], s[38:39]
	v_add_f64 v[46:47], v[138:139], v[46:47]
	v_fmac_f64_e32 v[140:141], s[8:9], v[54:55]
	v_add_f64 v[144:145], v[144:145], v[42:43]
	v_fma_f64 v[42:43], s[6:7], v[72:73], v[146:147]
	v_mul_f64 v[148:149], v[66:67], s[38:39]
	v_add_f64 v[46:47], v[140:141], v[46:47]
	v_fmac_f64_e32 v[142:143], s[12:13], v[52:53]
	v_fma_f64 v[48:49], v[72:73], s[6:7], -v[146:147]
	v_mul_f64 v[124:125], v[118:119], s[44:45]
	v_add_f64 v[42:43], v[42:43], v[40:41]
	v_fma_f64 v[40:41], v[64:65], s[6:7], -v[148:149]
	v_add_f64 v[46:47], v[142:143], v[46:47]
	v_add_f64 v[50:51], v[48:49], v[44:45]
	v_fmac_f64_e32 v[148:149], s[6:7], v[64:65]
	v_fma_f64 v[44:45], s[14:15], v[96:97], v[124:125]
	v_mul_f64 v[126:127], v[116:117], s[22:23]
	s_mov_b32 s47, 0x3fc7851a
	s_mov_b32 s46, s16
	v_add_f64 v[48:49], v[148:149], v[46:47]
	v_add_f64 v[44:45], v[2:3], v[44:45]
	v_fma_f64 v[46:47], s[12:13], v[88:89], v[126:127]
	v_mul_f64 v[128:129], v[114:115], s[46:47]
	v_add_f64 v[44:45], v[46:47], v[44:45]
	v_fma_f64 v[46:47], s[0:1], v[86:87], v[128:129]
	v_mul_f64 v[130:131], v[108:109], s[42:43]
	;; [unrolled: 3-line block ×6, first 2 shown]
	v_add_f64 v[44:45], v[46:47], v[44:45]
	v_fma_f64 v[46:47], v[98:99], s[14:15], -v[138:139]
	v_mul_f64 v[140:141], v[110:111], s[22:23]
	v_fma_f64 v[124:125], v[96:97], s[14:15], -v[124:125]
	v_add_f64 v[46:47], v[0:1], v[46:47]
	v_fma_f64 v[142:143], v[80:81], s[12:13], -v[140:141]
	v_fma_f64 v[126:127], v[88:89], s[12:13], -v[126:127]
	v_add_f64 v[124:125], v[2:3], v[124:125]
	v_add_f64 v[46:47], v[142:143], v[46:47]
	v_mul_f64 v[142:143], v[106:107], s[46:47]
	v_add_f64 v[124:125], v[126:127], v[124:125]
	v_fma_f64 v[126:127], v[86:87], s[0:1], -v[128:129]
	v_add_f64 v[40:41], v[40:41], v[144:145]
	v_fma_f64 v[144:145], v[76:77], s[0:1], -v[142:143]
	;; [unrolled: 2-line block ×3, first 2 shown]
	v_add_f64 v[46:47], v[144:145], v[46:47]
	v_mul_f64 v[144:145], v[102:103], s[42:43]
	v_add_f64 v[124:125], v[126:127], v[124:125]
	v_fma_f64 v[126:127], v[78:79], s[6:7], -v[132:133]
	v_fma_f64 v[146:147], v[58:59], s[18:19], -v[144:145]
	v_add_f64 v[124:125], v[126:127], v[124:125]
	v_fma_f64 v[126:127], v[62:63], s[10:11], -v[134:135]
	v_add_f64 v[46:47], v[146:147], v[46:47]
	v_mul_f64 v[146:147], v[94:95], s[38:39]
	v_add_f64 v[124:125], v[126:127], v[124:125]
	v_fma_f64 v[126:127], v[60:61], s[24:25], -v[136:137]
	v_fmac_f64_e32 v[138:139], s[14:15], v[98:99]
	v_fma_f64 v[148:149], v[56:57], s[6:7], -v[146:147]
	v_add_f64 v[124:125], v[126:127], v[124:125]
	v_fmac_f64_e32 v[140:141], s[12:13], v[80:81]
	v_add_f64 v[126:127], v[0:1], v[138:139]
	v_add_f64 v[46:47], v[148:149], v[46:47]
	v_mul_f64 v[148:149], v[90:91], s[36:37]
	v_add_f64 v[126:127], v[140:141], v[126:127]
	v_fmac_f64_e32 v[142:143], s[0:1], v[76:77]
	v_fma_f64 v[150:151], v[54:55], s[10:11], -v[148:149]
	v_add_f64 v[126:127], v[142:143], v[126:127]
	v_fmac_f64_e32 v[144:145], s[18:19], v[58:59]
	v_add_f64 v[46:47], v[150:151], v[46:47]
	v_mul_f64 v[150:151], v[84:85], s[34:35]
	v_add_f64 v[126:127], v[144:145], v[126:127]
	v_fmac_f64_e32 v[146:147], s[6:7], v[56:57]
	v_fma_f64 v[152:153], v[52:53], s[24:25], -v[150:151]
	v_mul_f64 v[154:155], v[74:75], s[20:21]
	v_add_f64 v[126:127], v[146:147], v[126:127]
	v_fmac_f64_e32 v[148:149], s[10:11], v[54:55]
	v_add_f64 v[152:153], v[152:153], v[46:47]
	v_fma_f64 v[46:47], s[8:9], v[72:73], v[154:155]
	v_mul_f64 v[156:157], v[66:67], s[20:21]
	v_add_f64 v[126:127], v[148:149], v[126:127]
	v_fmac_f64_e32 v[150:151], s[24:25], v[52:53]
	v_add_f64 v[46:47], v[46:47], v[44:45]
	v_fma_f64 v[44:45], v[64:65], s[8:9], -v[156:157]
	v_add_f64 v[128:129], v[150:151], v[126:127]
	v_fma_f64 v[126:127], v[72:73], s[8:9], -v[154:155]
	v_fmac_f64_e32 v[156:157], s[8:9], v[64:65]
	v_mul_f64 v[132:133], v[118:119], s[40:41]
	v_add_f64 v[126:127], v[126:127], v[124:125]
	v_add_f64 v[124:125], v[156:157], v[128:129]
	v_fma_f64 v[128:129], s[6:7], v[96:97], v[132:133]
	v_mul_f64 v[134:135], v[116:117], s[34:35]
	v_add_f64 v[128:129], v[2:3], v[128:129]
	v_fma_f64 v[130:131], s[24:25], v[88:89], v[134:135]
	v_mul_f64 v[136:137], v[114:115], s[22:23]
	;; [unrolled: 3-line block ×7, first 2 shown]
	v_add_f64 v[128:129], v[130:131], v[128:129]
	v_fma_f64 v[130:131], v[98:99], s[6:7], -v[146:147]
	v_mul_f64 v[148:149], v[110:111], s[34:35]
	v_fma_f64 v[132:133], v[96:97], s[6:7], -v[132:133]
	v_add_f64 v[130:131], v[0:1], v[130:131]
	v_fma_f64 v[150:151], v[80:81], s[24:25], -v[148:149]
	v_fma_f64 v[134:135], v[88:89], s[24:25], -v[134:135]
	v_add_f64 v[132:133], v[2:3], v[132:133]
	v_add_f64 v[130:131], v[150:151], v[130:131]
	v_mul_f64 v[150:151], v[106:107], s[22:23]
	v_add_f64 v[132:133], v[134:135], v[132:133]
	v_fma_f64 v[134:135], v[86:87], s[12:13], -v[136:137]
	v_add_f64 v[44:45], v[44:45], v[152:153]
	v_fma_f64 v[152:153], v[76:77], s[12:13], -v[150:151]
	;; [unrolled: 2-line block ×3, first 2 shown]
	v_add_f64 v[130:131], v[152:153], v[130:131]
	v_mul_f64 v[152:153], v[102:103], s[16:17]
	v_add_f64 v[132:133], v[134:135], v[132:133]
	v_fma_f64 v[134:135], v[78:79], s[8:9], -v[140:141]
	v_fma_f64 v[154:155], v[58:59], s[0:1], -v[152:153]
	v_add_f64 v[132:133], v[134:135], v[132:133]
	v_fma_f64 v[134:135], v[62:63], s[18:19], -v[142:143]
	v_add_f64 v[130:131], v[154:155], v[130:131]
	v_mul_f64 v[154:155], v[94:95], s[48:49]
	v_add_f64 v[132:133], v[134:135], v[132:133]
	v_fma_f64 v[134:135], v[60:61], s[14:15], -v[144:145]
	v_fmac_f64_e32 v[146:147], s[6:7], v[98:99]
	v_fma_f64 v[156:157], v[56:57], s[8:9], -v[154:155]
	v_add_f64 v[132:133], v[134:135], v[132:133]
	v_fmac_f64_e32 v[148:149], s[24:25], v[80:81]
	v_add_f64 v[134:135], v[0:1], v[146:147]
	v_add_f64 v[130:131], v[156:157], v[130:131]
	v_mul_f64 v[156:157], v[90:91], s[42:43]
	v_add_f64 v[134:135], v[148:149], v[134:135]
	v_fmac_f64_e32 v[150:151], s[12:13], v[76:77]
	v_fma_f64 v[158:159], v[54:55], s[18:19], -v[156:157]
	v_add_f64 v[134:135], v[150:151], v[134:135]
	v_fmac_f64_e32 v[152:153], s[0:1], v[58:59]
	v_add_f64 v[130:131], v[158:159], v[130:131]
	v_mul_f64 v[158:159], v[84:85], s[30:31]
	v_add_f64 v[134:135], v[152:153], v[134:135]
	v_fmac_f64_e32 v[154:155], s[8:9], v[56:57]
	v_fma_f64 v[160:161], v[52:53], s[14:15], -v[158:159]
	v_mul_f64 v[162:163], v[74:75], s[28:29]
	v_add_f64 v[134:135], v[154:155], v[134:135]
	v_fmac_f64_e32 v[156:157], s[18:19], v[54:55]
	v_add_f64 v[160:161], v[160:161], v[130:131]
	v_fma_f64 v[130:131], s[10:11], v[72:73], v[162:163]
	v_mul_f64 v[164:165], v[66:67], s[28:29]
	v_add_f64 v[134:135], v[156:157], v[134:135]
	v_fmac_f64_e32 v[158:159], s[14:15], v[52:53]
	v_add_f64 v[130:131], v[130:131], v[128:129]
	v_fma_f64 v[128:129], v[64:65], s[10:11], -v[164:165]
	v_add_f64 v[136:137], v[158:159], v[134:135]
	v_fma_f64 v[134:135], v[72:73], s[10:11], -v[162:163]
	v_fmac_f64_e32 v[164:165], s[10:11], v[64:65]
	v_mul_f64 v[118:119], v[118:119], s[36:37]
	v_add_f64 v[134:135], v[134:135], v[132:133]
	v_add_f64 v[132:133], v[164:165], v[136:137]
	v_mul_f64 v[116:117], v[116:117], s[40:41]
	v_fma_f64 v[136:137], s[10:11], v[96:97], v[118:119]
	v_add_f64 v[136:137], v[2:3], v[136:137]
	v_fma_f64 v[138:139], s[6:7], v[88:89], v[116:117]
	v_mul_f64 v[114:115], v[114:115], s[44:45]
	v_add_f64 v[136:137], v[138:139], v[136:137]
	v_fma_f64 v[138:139], s[14:15], v[86:87], v[114:115]
	v_mul_f64 v[108:109], v[108:109], s[34:35]
	;; [unrolled: 3-line block ×4, first 2 shown]
	v_add_f64 v[136:137], v[138:139], v[136:137]
	v_fma_f64 v[138:139], s[12:13], v[62:63], v[100:101]
	v_add_f64 v[136:137], v[138:139], v[136:137]
	v_mul_f64 v[138:139], v[92:93], s[20:21]
	v_fma_f64 v[92:93], s[8:9], v[60:61], v[138:139]
	v_mul_f64 v[112:113], v[112:113], s[36:37]
	v_add_f64 v[92:93], v[92:93], v[136:137]
	v_mul_f64 v[110:111], v[110:111], s[40:41]
	v_fma_f64 v[136:137], v[98:99], s[10:11], -v[112:113]
	v_add_f64 v[136:137], v[0:1], v[136:137]
	v_fma_f64 v[140:141], v[80:81], s[6:7], -v[110:111]
	v_mul_f64 v[106:107], v[106:107], s[44:45]
	v_add_f64 v[136:137], v[140:141], v[136:137]
	v_fma_f64 v[140:141], v[76:77], s[14:15], -v[106:107]
	v_mul_f64 v[102:103], v[102:103], s[34:35]
	;; [unrolled: 3-line block ×3, first 2 shown]
	v_add_f64 v[136:137], v[140:141], v[136:137]
	v_fma_f64 v[140:141], v[56:57], s[18:19], -v[94:95]
	v_add_f64 v[136:137], v[140:141], v[136:137]
	v_mul_f64 v[140:141], v[90:91], s[22:23]
	v_fma_f64 v[90:91], v[54:55], s[12:13], -v[140:141]
	v_mul_f64 v[84:85], v[84:85], s[20:21]
	v_add_f64 v[90:91], v[90:91], v[136:137]
	v_fma_f64 v[136:137], v[52:53], s[8:9], -v[84:85]
	v_mul_f64 v[74:75], v[74:75], s[16:17]
	v_fma_f64 v[96:97], v[96:97], s[10:11], -v[118:119]
	v_fmac_f64_e32 v[112:113], s[10:11], v[98:99]
	v_add_f64 v[90:91], v[136:137], v[90:91]
	v_fma_f64 v[136:137], s[0:1], v[72:73], v[74:75]
	v_add_f64 v[2:3], v[2:3], v[96:97]
	v_add_f64 v[0:1], v[0:1], v[112:113]
	v_fma_f64 v[72:73], v[72:73], s[0:1], -v[74:75]
	v_fma_f64 v[74:75], v[78:79], s[18:19], -v[104:105]
	;; [unrolled: 1-line block ×5, first 2 shown]
	v_fmac_f64_e32 v[110:111], s[6:7], v[80:81]
	v_add_f64 v[2:3], v[86:87], v[2:3]
	v_fmac_f64_e32 v[106:107], s[14:15], v[76:77]
	v_add_f64 v[0:1], v[110:111], v[0:1]
	v_add_f64 v[2:3], v[82:83], v[2:3]
	v_fmac_f64_e32 v[102:103], s[24:25], v[58:59]
	v_add_f64 v[0:1], v[106:107], v[0:1]
	;; [unrolled: 3-line block ×3, first 2 shown]
	v_fma_f64 v[62:63], v[62:63], s[12:13], -v[100:101]
	v_add_f64 v[2:3], v[74:75], v[2:3]
	v_fmac_f64_e32 v[140:141], s[12:13], v[54:55]
	v_add_f64 v[0:1], v[94:95], v[0:1]
	v_mul_f64 v[66:67], v[66:67], s[16:17]
	v_fma_f64 v[60:61], v[60:61], s[8:9], -v[138:139]
	v_add_f64 v[2:3], v[62:63], v[2:3]
	v_fmac_f64_e32 v[84:85], s[8:9], v[52:53]
	v_add_f64 v[0:1], v[140:141], v[0:1]
	v_mul_u32_u24_e32 v52, 0x110, v70
	v_add_f64 v[92:93], v[136:137], v[92:93]
	v_fma_f64 v[136:137], v[64:65], s[0:1], -v[66:67]
	v_add_f64 v[2:3], v[60:61], v[2:3]
	v_fmac_f64_e32 v[66:67], s[0:1], v[64:65]
	v_add_f64 v[0:1], v[84:85], v[0:1]
	v_add3_u32 v52, 0, v52, v122
	v_add_f64 v[128:129], v[128:129], v[160:161]
	v_add_f64 v[90:91], v[136:137], v[90:91]
	;; [unrolled: 1-line block ×4, first 2 shown]
	ds_write_b128 v52, v[4:7]
	ds_write_b128 v52, v[0:3] offset:16
	ds_write_b128 v52, v[132:135] offset:32
	;; [unrolled: 1-line block ×16, first 2 shown]
.LBB0_18:
	s_or_b64 exec, exec, s[2:3]
	v_mul_u32_u24_e32 v0, 5, v70
	v_lshlrev_b32_e32 v20, 4, v0
	s_waitcnt lgkmcnt(0)
	s_barrier
	global_load_dwordx4 v[0:3], v20, s[4:5]
	global_load_dwordx4 v[4:7], v20, s[4:5] offset:16
	global_load_dwordx4 v[8:11], v20, s[4:5] offset:32
	;; [unrolled: 1-line block ×4, first 2 shown]
	ds_read_b128 v[20:23], v121
	ds_read_b128 v[24:27], v71 offset:272
	ds_read_b128 v[28:31], v71 offset:544
	;; [unrolled: 1-line block ×5, first 2 shown]
	s_mov_b32 s0, 0xe8584caa
	s_mov_b32 s1, 0xbfebb67a
	;; [unrolled: 1-line block ×4, first 2 shown]
	s_waitcnt lgkmcnt(0)
	s_barrier
	s_waitcnt vmcnt(4)
	v_mul_f64 v[44:45], v[26:27], v[2:3]
	v_mul_f64 v[2:3], v[24:25], v[2:3]
	s_waitcnt vmcnt(3)
	v_mul_f64 v[46:47], v[30:31], v[6:7]
	v_mul_f64 v[6:7], v[28:29], v[6:7]
	;; [unrolled: 3-line block ×4, first 2 shown]
	v_mul_f64 v[50:51], v[38:39], v[14:15]
	v_mul_f64 v[14:15], v[36:37], v[14:15]
	v_fmac_f64_e32 v[44:45], v[24:25], v[0:1]
	v_fma_f64 v[24:25], v[26:27], v[0:1], -v[2:3]
	v_fma_f64 v[0:1], v[30:31], v[4:5], -v[6:7]
	;; [unrolled: 1-line block ×4, first 2 shown]
	v_fmac_f64_e32 v[46:47], v[28:29], v[4:5]
	v_fmac_f64_e32 v[48:49], v[32:33], v[8:9]
	;; [unrolled: 1-line block ×3, first 2 shown]
	v_fma_f64 v[4:5], v[38:39], v[12:13], -v[14:15]
	v_fmac_f64_e32 v[52:53], v[40:41], v[16:17]
	v_add_f64 v[28:29], v[2:3], -v[6:7]
	v_add_f64 v[30:31], v[24:25], v[2:3]
	v_add_f64 v[2:3], v[2:3], v[6:7]
	;; [unrolled: 1-line block ×3, first 2 shown]
	v_add_f64 v[12:13], v[0:1], -v[4:5]
	v_add_f64 v[14:15], v[22:23], v[0:1]
	v_add_f64 v[0:1], v[0:1], v[4:5]
	;; [unrolled: 1-line block ×3, first 2 shown]
	v_add_f64 v[32:33], v[48:49], -v[52:53]
	v_fmac_f64_e32 v[24:25], -0.5, v[2:3]
	v_add_f64 v[8:9], v[20:21], v[46:47]
	v_add_f64 v[16:17], v[46:47], -v[50:51]
	v_add_f64 v[18:19], v[44:45], v[48:49]
	v_fmac_f64_e32 v[20:21], -0.5, v[10:11]
	v_add_f64 v[10:11], v[14:15], v[4:5]
	v_fmac_f64_e32 v[22:23], -0.5, v[0:1]
	v_fmac_f64_e32 v[44:45], -0.5, v[26:27]
	v_fma_f64 v[14:15], s[2:3], v[32:33], v[24:25]
	v_fmac_f64_e32 v[24:25], s[0:1], v[32:33]
	v_add_f64 v[8:9], v[8:9], v[50:51]
	v_add_f64 v[4:5], v[18:19], v[52:53]
	;; [unrolled: 1-line block ×3, first 2 shown]
	v_fma_f64 v[18:19], s[0:1], v[12:13], v[20:21]
	v_fmac_f64_e32 v[20:21], s[2:3], v[12:13]
	v_fma_f64 v[26:27], s[2:3], v[16:17], v[22:23]
	v_fmac_f64_e32 v[22:23], s[0:1], v[16:17]
	;; [unrolled: 2-line block ×3, first 2 shown]
	v_mul_f64 v[16:17], v[14:15], s[0:1]
	v_mul_f64 v[28:29], v[24:25], s[0:1]
	v_mul_f64 v[30:31], v[14:15], 0.5
	v_mul_f64 v[24:25], v[24:25], -0.5
	v_add_f64 v[0:1], v[8:9], v[4:5]
	v_add_f64 v[2:3], v[10:11], v[6:7]
	v_fmac_f64_e32 v[16:17], 0.5, v[12:13]
	v_fmac_f64_e32 v[28:29], -0.5, v[44:45]
	v_fmac_f64_e32 v[30:31], s[2:3], v[12:13]
	v_fmac_f64_e32 v[24:25], s[2:3], v[44:45]
	v_add_f64 v[4:5], v[8:9], -v[4:5]
	v_add_f64 v[6:7], v[10:11], -v[6:7]
	v_add_f64 v[8:9], v[18:19], v[16:17]
	v_add_f64 v[12:13], v[20:21], v[28:29]
	;; [unrolled: 1-line block ×4, first 2 shown]
	v_add_f64 v[16:17], v[18:19], -v[16:17]
	v_add_f64 v[20:21], v[20:21], -v[28:29]
	v_add_f64 v[18:19], v[26:27], -v[30:31]
	v_add_f64 v[22:23], v[22:23], -v[24:25]
	ds_write_b128 v71, v[0:3]
	ds_write_b128 v71, v[8:11] offset:272
	ds_write_b128 v71, v[12:15] offset:544
	;; [unrolled: 1-line block ×5, first 2 shown]
	s_waitcnt lgkmcnt(0)
	s_barrier
	s_and_saveexec_b64 s[0:1], vcc
	s_cbranch_execz .LBB0_20
; %bb.19:
	v_lshl_add_u32 v12, v70, 4, v120
	ds_read_b128 v[0:3], v12
	ds_read_b128 v[4:7], v12 offset:272
	v_mov_b32_e32 v71, 0
	v_add_u32_e32 v8, 17, v70
	v_lshl_add_u64 v[10:11], v[70:71], 4, v[68:69]
	v_mov_b32_e32 v9, v71
	s_waitcnt lgkmcnt(1)
	global_store_dwordx4 v[10:11], v[0:3], off
	s_nop 1
	v_lshl_add_u64 v[0:1], v[8:9], 4, v[68:69]
	s_waitcnt lgkmcnt(0)
	global_store_dwordx4 v[0:1], v[4:7], off
	ds_read_b128 v[0:3], v12 offset:544
	s_nop 0
	v_add_u32_e32 v4, 34, v70
	v_mov_b32_e32 v5, v71
	v_lshl_add_u64 v[8:9], v[4:5], 4, v[68:69]
	ds_read_b128 v[4:7], v12 offset:816
	s_waitcnt lgkmcnt(1)
	global_store_dwordx4 v[8:9], v[0:3], off
	v_add_u32_e32 v8, 0x44, v70
	v_mov_b32_e32 v9, v71
	v_add_u32_e32 v0, 51, v70
	v_mov_b32_e32 v1, v71
	v_lshl_add_u64 v[0:1], v[0:1], 4, v[68:69]
	s_waitcnt lgkmcnt(0)
	global_store_dwordx4 v[0:1], v[4:7], off
	ds_read_b128 v[0:3], v12 offset:1088
	ds_read_b128 v[4:7], v12 offset:1360
	v_lshl_add_u64 v[8:9], v[8:9], 4, v[68:69]
	v_add_u32_e32 v70, 0x55, v70
	s_waitcnt lgkmcnt(1)
	global_store_dwordx4 v[8:9], v[0:3], off
	s_nop 1
	v_lshl_add_u64 v[0:1], v[70:71], 4, v[68:69]
	s_waitcnt lgkmcnt(0)
	global_store_dwordx4 v[0:1], v[4:7], off
.LBB0_20:
	s_endpgm
	.section	.rodata,"a",@progbits
	.p2align	6, 0x0
	.amdhsa_kernel fft_rtc_back_len102_factors_17_6_wgs_119_tpt_17_halfLds_dp_ip_CI_unitstride_sbrr_C2R_dirReg
		.amdhsa_group_segment_fixed_size 0
		.amdhsa_private_segment_fixed_size 0
		.amdhsa_kernarg_size 88
		.amdhsa_user_sgpr_count 2
		.amdhsa_user_sgpr_dispatch_ptr 0
		.amdhsa_user_sgpr_queue_ptr 0
		.amdhsa_user_sgpr_kernarg_segment_ptr 1
		.amdhsa_user_sgpr_dispatch_id 0
		.amdhsa_user_sgpr_kernarg_preload_length 0
		.amdhsa_user_sgpr_kernarg_preload_offset 0
		.amdhsa_user_sgpr_private_segment_size 0
		.amdhsa_uses_dynamic_stack 0
		.amdhsa_enable_private_segment 0
		.amdhsa_system_sgpr_workgroup_id_x 1
		.amdhsa_system_sgpr_workgroup_id_y 0
		.amdhsa_system_sgpr_workgroup_id_z 0
		.amdhsa_system_sgpr_workgroup_info 0
		.amdhsa_system_vgpr_workitem_id 0
		.amdhsa_next_free_vgpr 166
		.amdhsa_next_free_sgpr 52
		.amdhsa_accum_offset 168
		.amdhsa_reserve_vcc 1
		.amdhsa_float_round_mode_32 0
		.amdhsa_float_round_mode_16_64 0
		.amdhsa_float_denorm_mode_32 3
		.amdhsa_float_denorm_mode_16_64 3
		.amdhsa_dx10_clamp 1
		.amdhsa_ieee_mode 1
		.amdhsa_fp16_overflow 0
		.amdhsa_tg_split 0
		.amdhsa_exception_fp_ieee_invalid_op 0
		.amdhsa_exception_fp_denorm_src 0
		.amdhsa_exception_fp_ieee_div_zero 0
		.amdhsa_exception_fp_ieee_overflow 0
		.amdhsa_exception_fp_ieee_underflow 0
		.amdhsa_exception_fp_ieee_inexact 0
		.amdhsa_exception_int_div_zero 0
	.end_amdhsa_kernel
	.text
.Lfunc_end0:
	.size	fft_rtc_back_len102_factors_17_6_wgs_119_tpt_17_halfLds_dp_ip_CI_unitstride_sbrr_C2R_dirReg, .Lfunc_end0-fft_rtc_back_len102_factors_17_6_wgs_119_tpt_17_halfLds_dp_ip_CI_unitstride_sbrr_C2R_dirReg
                                        ; -- End function
	.section	.AMDGPU.csdata,"",@progbits
; Kernel info:
; codeLenInByte = 9016
; NumSgprs: 58
; NumVgprs: 166
; NumAgprs: 0
; TotalNumVgprs: 166
; ScratchSize: 0
; MemoryBound: 0
; FloatMode: 240
; IeeeMode: 1
; LDSByteSize: 0 bytes/workgroup (compile time only)
; SGPRBlocks: 7
; VGPRBlocks: 20
; NumSGPRsForWavesPerEU: 58
; NumVGPRsForWavesPerEU: 166
; AccumOffset: 168
; Occupancy: 3
; WaveLimiterHint : 1
; COMPUTE_PGM_RSRC2:SCRATCH_EN: 0
; COMPUTE_PGM_RSRC2:USER_SGPR: 2
; COMPUTE_PGM_RSRC2:TRAP_HANDLER: 0
; COMPUTE_PGM_RSRC2:TGID_X_EN: 1
; COMPUTE_PGM_RSRC2:TGID_Y_EN: 0
; COMPUTE_PGM_RSRC2:TGID_Z_EN: 0
; COMPUTE_PGM_RSRC2:TIDIG_COMP_CNT: 0
; COMPUTE_PGM_RSRC3_GFX90A:ACCUM_OFFSET: 41
; COMPUTE_PGM_RSRC3_GFX90A:TG_SPLIT: 0
	.text
	.p2alignl 6, 3212836864
	.fill 256, 4, 3212836864
	.type	__hip_cuid_87c728749f765780,@object ; @__hip_cuid_87c728749f765780
	.section	.bss,"aw",@nobits
	.globl	__hip_cuid_87c728749f765780
__hip_cuid_87c728749f765780:
	.byte	0                               ; 0x0
	.size	__hip_cuid_87c728749f765780, 1

	.ident	"AMD clang version 19.0.0git (https://github.com/RadeonOpenCompute/llvm-project roc-6.4.0 25133 c7fe45cf4b819c5991fe208aaa96edf142730f1d)"
	.section	".note.GNU-stack","",@progbits
	.addrsig
	.addrsig_sym __hip_cuid_87c728749f765780
	.amdgpu_metadata
---
amdhsa.kernels:
  - .agpr_count:     0
    .args:
      - .actual_access:  read_only
        .address_space:  global
        .offset:         0
        .size:           8
        .value_kind:     global_buffer
      - .offset:         8
        .size:           8
        .value_kind:     by_value
      - .actual_access:  read_only
        .address_space:  global
        .offset:         16
        .size:           8
        .value_kind:     global_buffer
      - .actual_access:  read_only
        .address_space:  global
        .offset:         24
        .size:           8
        .value_kind:     global_buffer
      - .offset:         32
        .size:           8
        .value_kind:     by_value
      - .actual_access:  read_only
        .address_space:  global
        .offset:         40
        .size:           8
        .value_kind:     global_buffer
      - .actual_access:  read_only
        .address_space:  global
        .offset:         48
        .size:           8
        .value_kind:     global_buffer
      - .offset:         56
        .size:           4
        .value_kind:     by_value
      - .actual_access:  read_only
        .address_space:  global
        .offset:         64
        .size:           8
        .value_kind:     global_buffer
      - .actual_access:  read_only
        .address_space:  global
        .offset:         72
        .size:           8
        .value_kind:     global_buffer
      - .address_space:  global
        .offset:         80
        .size:           8
        .value_kind:     global_buffer
    .group_segment_fixed_size: 0
    .kernarg_segment_align: 8
    .kernarg_segment_size: 88
    .language:       OpenCL C
    .language_version:
      - 2
      - 0
    .max_flat_workgroup_size: 119
    .name:           fft_rtc_back_len102_factors_17_6_wgs_119_tpt_17_halfLds_dp_ip_CI_unitstride_sbrr_C2R_dirReg
    .private_segment_fixed_size: 0
    .sgpr_count:     58
    .sgpr_spill_count: 0
    .symbol:         fft_rtc_back_len102_factors_17_6_wgs_119_tpt_17_halfLds_dp_ip_CI_unitstride_sbrr_C2R_dirReg.kd
    .uniform_work_group_size: 1
    .uses_dynamic_stack: false
    .vgpr_count:     166
    .vgpr_spill_count: 0
    .wavefront_size: 64
amdhsa.target:   amdgcn-amd-amdhsa--gfx950
amdhsa.version:
  - 1
  - 2
...

	.end_amdgpu_metadata
